;; amdgpu-corpus repo=ROCm/rocFFT kind=compiled arch=gfx906 opt=O3
	.text
	.amdgcn_target "amdgcn-amd-amdhsa--gfx906"
	.amdhsa_code_object_version 6
	.protected	fft_rtc_fwd_len156_factors_3_4_13_wgs_117_tpt_13_half_op_CI_CI_unitstride_sbrr_dirReg ; -- Begin function fft_rtc_fwd_len156_factors_3_4_13_wgs_117_tpt_13_half_op_CI_CI_unitstride_sbrr_dirReg
	.globl	fft_rtc_fwd_len156_factors_3_4_13_wgs_117_tpt_13_half_op_CI_CI_unitstride_sbrr_dirReg
	.p2align	8
	.type	fft_rtc_fwd_len156_factors_3_4_13_wgs_117_tpt_13_half_op_CI_CI_unitstride_sbrr_dirReg,@function
fft_rtc_fwd_len156_factors_3_4_13_wgs_117_tpt_13_half_op_CI_CI_unitstride_sbrr_dirReg: ; @fft_rtc_fwd_len156_factors_3_4_13_wgs_117_tpt_13_half_op_CI_CI_unitstride_sbrr_dirReg
; %bb.0:
	v_mul_u32_u24_e32 v1, 0x13b2, v0
	s_load_dwordx4 s[8:11], s[4:5], 0x58
	s_load_dwordx4 s[12:15], s[4:5], 0x0
	;; [unrolled: 1-line block ×3, first 2 shown]
	v_lshrrev_b32_e32 v1, 16, v1
	v_mad_u64_u32 v[6:7], s[0:1], s6, 9, v[1:2]
	v_mov_b32_e32 v3, 0
	s_waitcnt lgkmcnt(0)
	v_cmp_lt_u64_e64 s[0:1], s[14:15], 2
	v_mov_b32_e32 v8, 0
	v_mov_b32_e32 v7, v3
	;; [unrolled: 1-line block ×5, first 2 shown]
	s_and_b64 vcc, exec, s[0:1]
	v_mov_b32_e32 v2, v9
	v_mov_b32_e32 v5, v7
	s_cbranch_vccnz .LBB0_8
; %bb.1:
	s_load_dwordx2 s[0:1], s[4:5], 0x10
	s_add_u32 s2, s18, 8
	s_addc_u32 s3, s19, 0
	s_add_u32 s6, s16, 8
	s_addc_u32 s7, s17, 0
	v_mov_b32_e32 v8, 0
	s_waitcnt lgkmcnt(0)
	s_add_u32 s20, s0, 8
	v_mov_b32_e32 v9, 0
	v_mov_b32_e32 v1, v8
	;; [unrolled: 1-line block ×3, first 2 shown]
	s_addc_u32 s21, s1, 0
	s_mov_b64 s[22:23], 1
	v_mov_b32_e32 v2, v9
	v_mov_b32_e32 v10, v6
.LBB0_2:                                ; =>This Inner Loop Header: Depth=1
	s_load_dwordx2 s[24:25], s[20:21], 0x0
	s_waitcnt lgkmcnt(0)
	v_or_b32_e32 v4, s25, v11
	v_cmp_ne_u64_e32 vcc, 0, v[3:4]
                                        ; implicit-def: $vgpr4_vgpr5
	s_and_saveexec_b64 s[0:1], vcc
	s_xor_b64 s[26:27], exec, s[0:1]
	s_cbranch_execz .LBB0_4
; %bb.3:                                ;   in Loop: Header=BB0_2 Depth=1
	v_cvt_f32_u32_e32 v4, s24
	v_cvt_f32_u32_e32 v5, s25
	s_sub_u32 s0, 0, s24
	s_subb_u32 s1, 0, s25
	v_mac_f32_e32 v4, 0x4f800000, v5
	v_rcp_f32_e32 v4, v4
	v_mul_f32_e32 v4, 0x5f7ffffc, v4
	v_mul_f32_e32 v5, 0x2f800000, v4
	v_trunc_f32_e32 v5, v5
	v_mac_f32_e32 v4, 0xcf800000, v5
	v_cvt_u32_f32_e32 v5, v5
	v_cvt_u32_f32_e32 v4, v4
	v_mul_lo_u32 v7, s0, v5
	v_mul_hi_u32 v12, s0, v4
	v_mul_lo_u32 v14, s1, v4
	v_mul_lo_u32 v13, s0, v4
	v_add_u32_e32 v7, v12, v7
	v_add_u32_e32 v7, v7, v14
	v_mul_hi_u32 v12, v4, v13
	v_mul_lo_u32 v14, v4, v7
	v_mul_hi_u32 v16, v4, v7
	v_mul_hi_u32 v15, v5, v13
	v_mul_lo_u32 v13, v5, v13
	v_mul_hi_u32 v17, v5, v7
	v_add_co_u32_e32 v12, vcc, v12, v14
	v_addc_co_u32_e32 v14, vcc, 0, v16, vcc
	v_mul_lo_u32 v7, v5, v7
	v_add_co_u32_e32 v12, vcc, v12, v13
	v_addc_co_u32_e32 v12, vcc, v14, v15, vcc
	v_addc_co_u32_e32 v13, vcc, 0, v17, vcc
	v_add_co_u32_e32 v7, vcc, v12, v7
	v_addc_co_u32_e32 v12, vcc, 0, v13, vcc
	v_add_co_u32_e32 v4, vcc, v4, v7
	v_addc_co_u32_e32 v5, vcc, v5, v12, vcc
	v_mul_lo_u32 v7, s0, v5
	v_mul_hi_u32 v12, s0, v4
	v_mul_lo_u32 v13, s1, v4
	v_mul_lo_u32 v14, s0, v4
	v_add_u32_e32 v7, v12, v7
	v_add_u32_e32 v7, v7, v13
	v_mul_lo_u32 v15, v4, v7
	v_mul_hi_u32 v16, v4, v14
	v_mul_hi_u32 v17, v4, v7
	;; [unrolled: 1-line block ×3, first 2 shown]
	v_mul_lo_u32 v14, v5, v14
	v_mul_hi_u32 v12, v5, v7
	v_add_co_u32_e32 v15, vcc, v16, v15
	v_addc_co_u32_e32 v16, vcc, 0, v17, vcc
	v_mul_lo_u32 v7, v5, v7
	v_add_co_u32_e32 v14, vcc, v15, v14
	v_addc_co_u32_e32 v13, vcc, v16, v13, vcc
	v_addc_co_u32_e32 v12, vcc, 0, v12, vcc
	v_add_co_u32_e32 v7, vcc, v13, v7
	v_addc_co_u32_e32 v12, vcc, 0, v12, vcc
	v_add_co_u32_e32 v7, vcc, v4, v7
	v_addc_co_u32_e32 v12, vcc, v5, v12, vcc
	v_mad_u64_u32 v[4:5], s[0:1], v10, v12, 0
	v_mul_hi_u32 v13, v10, v7
	v_add_co_u32_e32 v14, vcc, v13, v4
	v_addc_co_u32_e32 v15, vcc, 0, v5, vcc
	v_mad_u64_u32 v[4:5], s[0:1], v11, v7, 0
	v_mad_u64_u32 v[12:13], s[0:1], v11, v12, 0
	v_add_co_u32_e32 v4, vcc, v14, v4
	v_addc_co_u32_e32 v4, vcc, v15, v5, vcc
	v_addc_co_u32_e32 v5, vcc, 0, v13, vcc
	v_add_co_u32_e32 v7, vcc, v4, v12
	v_addc_co_u32_e32 v12, vcc, 0, v5, vcc
	v_mul_lo_u32 v13, s25, v7
	v_mul_lo_u32 v14, s24, v12
	v_mad_u64_u32 v[4:5], s[0:1], s24, v7, 0
	v_add3_u32 v5, v5, v14, v13
	v_sub_u32_e32 v13, v11, v5
	v_mov_b32_e32 v14, s25
	v_sub_co_u32_e32 v4, vcc, v10, v4
	v_subb_co_u32_e64 v13, s[0:1], v13, v14, vcc
	v_subrev_co_u32_e64 v14, s[0:1], s24, v4
	v_subbrev_co_u32_e64 v13, s[0:1], 0, v13, s[0:1]
	v_cmp_le_u32_e64 s[0:1], s25, v13
	v_cndmask_b32_e64 v15, 0, -1, s[0:1]
	v_cmp_le_u32_e64 s[0:1], s24, v14
	v_cndmask_b32_e64 v14, 0, -1, s[0:1]
	v_cmp_eq_u32_e64 s[0:1], s25, v13
	v_cndmask_b32_e64 v13, v15, v14, s[0:1]
	v_add_co_u32_e64 v14, s[0:1], 2, v7
	v_addc_co_u32_e64 v15, s[0:1], 0, v12, s[0:1]
	v_add_co_u32_e64 v16, s[0:1], 1, v7
	v_addc_co_u32_e64 v17, s[0:1], 0, v12, s[0:1]
	v_subb_co_u32_e32 v5, vcc, v11, v5, vcc
	v_cmp_ne_u32_e64 s[0:1], 0, v13
	v_cmp_le_u32_e32 vcc, s25, v5
	v_cndmask_b32_e64 v13, v17, v15, s[0:1]
	v_cndmask_b32_e64 v15, 0, -1, vcc
	v_cmp_le_u32_e32 vcc, s24, v4
	v_cndmask_b32_e64 v4, 0, -1, vcc
	v_cmp_eq_u32_e32 vcc, s25, v5
	v_cndmask_b32_e32 v4, v15, v4, vcc
	v_cmp_ne_u32_e32 vcc, 0, v4
	v_cndmask_b32_e64 v4, v16, v14, s[0:1]
	v_cndmask_b32_e32 v5, v12, v13, vcc
	v_cndmask_b32_e32 v4, v7, v4, vcc
.LBB0_4:                                ;   in Loop: Header=BB0_2 Depth=1
	s_andn2_saveexec_b64 s[0:1], s[26:27]
	s_cbranch_execz .LBB0_6
; %bb.5:                                ;   in Loop: Header=BB0_2 Depth=1
	v_cvt_f32_u32_e32 v4, s24
	s_sub_i32 s26, 0, s24
	v_rcp_iflag_f32_e32 v4, v4
	v_mul_f32_e32 v4, 0x4f7ffffe, v4
	v_cvt_u32_f32_e32 v4, v4
	v_mul_lo_u32 v5, s26, v4
	v_mul_hi_u32 v5, v4, v5
	v_add_u32_e32 v4, v4, v5
	v_mul_hi_u32 v4, v10, v4
	v_mul_lo_u32 v5, v4, s24
	v_add_u32_e32 v7, 1, v4
	v_sub_u32_e32 v5, v10, v5
	v_subrev_u32_e32 v12, s24, v5
	v_cmp_le_u32_e32 vcc, s24, v5
	v_cndmask_b32_e32 v5, v5, v12, vcc
	v_cndmask_b32_e32 v4, v4, v7, vcc
	v_add_u32_e32 v7, 1, v4
	v_cmp_le_u32_e32 vcc, s24, v5
	v_cndmask_b32_e32 v4, v4, v7, vcc
	v_mov_b32_e32 v5, v3
.LBB0_6:                                ;   in Loop: Header=BB0_2 Depth=1
	s_or_b64 exec, exec, s[0:1]
	v_mul_lo_u32 v7, v5, s24
	v_mul_lo_u32 v14, v4, s25
	v_mad_u64_u32 v[12:13], s[0:1], v4, s24, 0
	s_load_dwordx2 s[0:1], s[6:7], 0x0
	s_load_dwordx2 s[24:25], s[2:3], 0x0
	v_add3_u32 v7, v13, v14, v7
	v_sub_co_u32_e32 v10, vcc, v10, v12
	v_subb_co_u32_e32 v7, vcc, v11, v7, vcc
	s_waitcnt lgkmcnt(0)
	v_mul_lo_u32 v11, s0, v7
	v_mul_lo_u32 v12, s1, v10
	v_mad_u64_u32 v[8:9], s[0:1], s0, v10, v[8:9]
	s_add_u32 s22, s22, 1
	s_addc_u32 s23, s23, 0
	s_add_u32 s2, s2, 8
	v_mul_lo_u32 v7, s24, v7
	v_mul_lo_u32 v13, s25, v10
	v_mad_u64_u32 v[1:2], s[0:1], s24, v10, v[1:2]
	v_add3_u32 v9, v12, v9, v11
	s_addc_u32 s3, s3, 0
	v_mov_b32_e32 v10, s14
	s_add_u32 s6, s6, 8
	v_mov_b32_e32 v11, s15
	s_addc_u32 s7, s7, 0
	v_cmp_ge_u64_e32 vcc, s[22:23], v[10:11]
	s_add_u32 s20, s20, 8
	v_add3_u32 v2, v13, v2, v7
	s_addc_u32 s21, s21, 0
	s_cbranch_vccnz .LBB0_8
; %bb.7:                                ;   in Loop: Header=BB0_2 Depth=1
	v_mov_b32_e32 v11, v5
	v_mov_b32_e32 v10, v4
	s_branch .LBB0_2
.LBB0_8:
	s_load_dwordx2 s[0:1], s[4:5], 0x28
	s_lshl_b64 s[6:7], s[14:15], 3
	s_add_u32 s2, s18, s6
	s_addc_u32 s3, s19, s7
                                        ; implicit-def: $vgpr3
	s_waitcnt lgkmcnt(0)
	v_cmp_gt_u64_e32 vcc, s[0:1], v[4:5]
	v_cmp_le_u64_e64 s[0:1], s[0:1], v[4:5]
	s_and_saveexec_b64 s[4:5], s[0:1]
	s_xor_b64 s[0:1], exec, s[4:5]
; %bb.9:
	s_mov_b32 s4, 0x13b13b14
	v_mul_hi_u32 v3, v0, s4
                                        ; implicit-def: $vgpr8_vgpr9
	v_mul_u32_u24_e32 v3, 13, v3
	v_sub_u32_e32 v3, v0, v3
                                        ; implicit-def: $vgpr0
; %bb.10:
	s_or_saveexec_b64 s[4:5], s[0:1]
                                        ; implicit-def: $vgpr16
                                        ; implicit-def: $vgpr19
                                        ; implicit-def: $vgpr20
                                        ; implicit-def: $vgpr13
                                        ; implicit-def: $vgpr15
                                        ; implicit-def: $vgpr18
                                        ; implicit-def: $vgpr10
                                        ; implicit-def: $vgpr12
                                        ; implicit-def: $vgpr17
                                        ; implicit-def: $vgpr11
                                        ; implicit-def: $vgpr7
                                        ; implicit-def: $vgpr14
	s_xor_b64 exec, exec, s[4:5]
	s_cbranch_execz .LBB0_12
; %bb.11:
	s_add_u32 s0, s16, s6
	s_addc_u32 s1, s17, s7
	s_load_dwordx2 s[0:1], s[0:1], 0x0
	s_mov_b32 s6, 0x13b13b14
	v_mul_hi_u32 v3, v0, s6
	s_waitcnt lgkmcnt(0)
	v_mul_lo_u32 v7, s1, v4
	v_mul_lo_u32 v12, s0, v5
	v_mad_u64_u32 v[10:11], s[0:1], s0, v4, 0
	v_mul_u32_u24_e32 v3, 13, v3
	v_sub_u32_e32 v3, v0, v3
	v_add3_u32 v11, v11, v12, v7
	v_lshlrev_b64 v[10:11], 2, v[10:11]
	v_mov_b32_e32 v0, s9
	v_add_co_u32_e64 v10, s[0:1], s8, v10
	v_lshlrev_b64 v[7:8], 2, v[8:9]
	v_addc_co_u32_e64 v0, s[0:1], v0, v11, s[0:1]
	v_add_co_u32_e64 v7, s[0:1], v10, v7
	v_addc_co_u32_e64 v0, s[0:1], v0, v8, s[0:1]
	v_lshlrev_b32_e32 v8, 2, v3
	v_add_co_u32_e64 v8, s[0:1], v7, v8
	v_addc_co_u32_e64 v9, s[0:1], 0, v0, s[0:1]
	global_load_dword v16, v[8:9], off
	global_load_dword v13, v[8:9], off offset:52
	global_load_dword v10, v[8:9], off offset:104
	;; [unrolled: 1-line block ×11, first 2 shown]
.LBB0_12:
	s_or_b64 exec, exec, s[4:5]
	s_mov_b32 s0, 0x38e38e39
	v_mul_hi_u32 v0, v6, s0
	s_waitcnt vmcnt(5)
	v_pk_add_f16 v8, v16, v19
	s_waitcnt vmcnt(3)
	v_pk_add_f16 v23, v19, v20
	v_pk_add_f16 v19, v19, v20 neg_lo:[0,1] neg_hi:[0,1]
	v_lshrrev_b32_e32 v0, 1, v0
	v_lshl_add_u32 v0, v0, 3, v0
	v_sub_u32_e32 v0, v6, v0
	v_mul_u32_u24_e32 v0, 0x9c, v0
	s_movk_i32 s0, 0x3aee
	v_lshlrev_b32_e32 v0, 2, v0
	v_pk_fma_f16 v16, v23, 0.5, v16 op_sel_hi:[1,0,1] neg_lo:[1,0,0] neg_hi:[1,0,0]
	v_pk_mul_f16 v19, v19, s0 op_sel_hi:[1,0]
	v_add_u32_e32 v28, 0, v0
	v_pk_add_f16 v8, v8, v20
	v_pk_add_f16 v20, v16, v19 op_sel:[0,1] op_sel_hi:[1,0]
	v_pk_add_f16 v16, v16, v19 op_sel:[0,1] op_sel_hi:[1,0] neg_lo:[0,1] neg_hi:[0,1]
	s_mov_b32 s1, 0xffff
	v_mad_u32_u24 v22, v3, 12, v28
	v_bfi_b32 v19, s1, v20, v16
	v_pk_add_f16 v9, v13, v15
	ds_write2_b32 v22, v8, v19 offset1:1
	v_bfi_b32 v8, s1, v16, v20
	s_waitcnt vmcnt(2)
	v_pk_add_f16 v16, v15, v18
	v_pk_add_f16 v15, v15, v18 neg_lo:[0,1] neg_hi:[0,1]
	v_pk_fma_f16 v13, v16, 0.5, v13 op_sel_hi:[1,0,1] neg_lo:[1,0,0] neg_hi:[1,0,0]
	v_pk_mul_f16 v15, v15, s0 op_sel_hi:[1,0]
	v_pk_add_f16 v16, v13, v15 op_sel:[0,1] op_sel_hi:[1,0]
	v_pk_add_f16 v13, v13, v15 op_sel:[0,1] op_sel_hi:[1,0] neg_lo:[0,1] neg_hi:[0,1]
	v_pk_add_f16 v9, v9, v18
	v_bfi_b32 v15, s1, v16, v13
	ds_write2_b32 v22, v9, v15 offset0:39 offset1:40
	v_bfi_b32 v9, s1, v13, v16
	ds_write2_b32 v22, v8, v9 offset0:2 offset1:41
	s_waitcnt vmcnt(1)
	v_pk_add_f16 v8, v12, v17
	v_pk_add_f16 v9, v12, v17 neg_lo:[0,1] neg_hi:[0,1]
	v_pk_fma_f16 v8, v8, 0.5, v10 op_sel_hi:[1,0,1] neg_lo:[1,0,0] neg_hi:[1,0,0]
	v_pk_mul_f16 v9, v9, s0 op_sel_hi:[1,0]
	v_pk_add_f16 v6, v10, v12
	v_pk_add_f16 v10, v8, v9 op_sel:[0,1] op_sel_hi:[1,0]
	v_pk_add_f16 v8, v8, v9 op_sel:[0,1] op_sel_hi:[1,0] neg_lo:[0,1] neg_hi:[0,1]
	v_pk_add_f16 v6, v6, v17
	v_bfi_b32 v9, s1, v10, v8
	v_pk_add_f16 v21, v11, v7
	ds_write2_b32 v22, v6, v9 offset0:78 offset1:79
	s_waitcnt vmcnt(0)
	v_pk_add_f16 v9, v7, v14
	v_pk_add_f16 v7, v7, v14 neg_lo:[0,1] neg_hi:[0,1]
	v_pk_fma_f16 v9, v9, 0.5, v11 op_sel_hi:[1,0,1] neg_lo:[1,0,0] neg_hi:[1,0,0]
	v_pk_mul_f16 v7, v7, s0 op_sel_hi:[1,0]
	v_bfi_b32 v6, s1, v8, v10
	v_pk_add_f16 v10, v9, v7 op_sel:[0,1] op_sel_hi:[1,0]
	v_pk_add_f16 v7, v9, v7 op_sel:[0,1] op_sel_hi:[1,0] neg_lo:[0,1] neg_hi:[0,1]
	v_bfi_b32 v9, s1, v10, v7
	v_bfi_b32 v7, s1, v7, v10
	s_movk_i32 s0, 0xab
	v_pk_add_f16 v8, v21, v14
	ds_write2_b32 v22, v6, v7 offset0:80 offset1:119
	v_mul_lo_u16_sdwa v6, v3, s0 dst_sel:DWORD dst_unused:UNUSED_PAD src0_sel:BYTE_0 src1_sel:DWORD
	ds_write2_b32 v22, v8, v9 offset0:117 offset1:118
	v_lshrrev_b16_e32 v22, 9, v6
	v_mul_lo_u16_e32 v6, 3, v22
	v_sub_u16_e32 v23, v3, v6
	v_mul_lo_u16_e32 v6, 3, v23
	v_mov_b32_e32 v10, 2
	v_lshlrev_b32_sdwa v6, v10, v6 dst_sel:DWORD dst_unused:UNUSED_PAD src0_sel:DWORD src1_sel:BYTE_0
	s_load_dwordx2 s[4:5], s[2:3], 0x0
	s_waitcnt lgkmcnt(0)
	s_barrier
	global_load_dwordx3 v[7:9], v6, s[12:13]
	v_add_u16_e32 v6, 13, v3
	v_mul_lo_u16_sdwa v11, v6, s0 dst_sel:DWORD dst_unused:UNUSED_PAD src0_sel:BYTE_0 src1_sel:DWORD
	v_lshrrev_b16_e32 v24, 9, v11
	v_mul_lo_u16_e32 v11, 3, v24
	v_sub_u16_e32 v25, v6, v11
	v_mul_lo_u16_e32 v6, 3, v25
	v_lshlrev_b32_sdwa v6, v10, v6 dst_sel:DWORD dst_unused:UNUSED_PAD src0_sel:DWORD src1_sel:BYTE_0
	global_load_dwordx3 v[10:12], v6, s[12:13]
	v_add_u16_e32 v6, 26, v3
	v_mul_lo_u16_sdwa v13, v6, s0 dst_sel:DWORD dst_unused:UNUSED_PAD src0_sel:BYTE_0 src1_sel:DWORD
	v_lshrrev_b16_e32 v29, 9, v13
	v_mul_lo_u16_e32 v13, 3, v29
	v_sub_u16_e32 v30, v6, v13
	v_mov_b32_e32 v6, 3
	v_mul_u32_u24_sdwa v6, v30, v6 dst_sel:DWORD dst_unused:UNUSED_PAD src0_sel:BYTE_0 src1_sel:DWORD
	v_lshlrev_b32_e32 v6, 2, v6
	global_load_dwordx3 v[13:15], v6, s[12:13]
	v_lshlrev_b32_e32 v26, 2, v3
	v_add3_u32 v6, 0, v26, v0
	ds_read2_b32 v[16:17], v6 offset0:39 offset1:52
	ds_read2_b32 v[18:19], v6 offset0:65 offset1:78
	;; [unrolled: 1-line block ×3, first 2 shown]
	v_mul_lo_u16_e32 v24, 12, v24
	v_mul_u32_u24_e32 v29, 12, v29
	s_waitcnt lgkmcnt(2)
	v_lshrrev_b32_e32 v0, 16, v16
	s_waitcnt lgkmcnt(1)
	v_lshrrev_b32_e32 v27, 16, v19
	;; [unrolled: 2-line block ×3, first 2 shown]
	v_or_b32_sdwa v29, v29, v30 dst_sel:DWORD dst_unused:UNUSED_PAD src0_sel:DWORD src1_sel:BYTE_0
	v_cmp_gt_u32_e64 s[0:1], 12, v3
	s_waitcnt vmcnt(2)
	v_mul_f16_sdwa v32, v7, v0 dst_sel:DWORD dst_unused:UNUSED_PAD src0_sel:WORD_1 src1_sel:DWORD
	v_mul_f16_sdwa v33, v7, v16 dst_sel:DWORD dst_unused:UNUSED_PAD src0_sel:WORD_1 src1_sel:DWORD
	v_fma_f16 v16, v7, v16, -v32
	v_fma_f16 v0, v7, v0, v33
	v_mul_f16_sdwa v7, v9, v31 dst_sel:DWORD dst_unused:UNUSED_PAD src0_sel:WORD_1 src1_sel:DWORD
	v_fma_f16 v32, v9, v20, -v7
	v_mul_f16_sdwa v7, v9, v20 dst_sel:DWORD dst_unused:UNUSED_PAD src0_sel:WORD_1 src1_sel:DWORD
	v_mul_f16_sdwa v34, v8, v27 dst_sel:DWORD dst_unused:UNUSED_PAD src0_sel:WORD_1 src1_sel:DWORD
	;; [unrolled: 1-line block ×3, first 2 shown]
	v_fma_f16 v20, v9, v31, v7
	v_lshrrev_b32_e32 v7, 16, v17
	v_fma_f16 v19, v8, v19, -v34
	v_fma_f16 v27, v8, v27, v35
	ds_read2_b32 v[8:9], v6 offset0:91 offset1:104
	s_waitcnt vmcnt(1)
	v_mul_f16_sdwa v31, v10, v7 dst_sel:DWORD dst_unused:UNUSED_PAD src0_sel:WORD_1 src1_sel:DWORD
	v_fma_f16 v31, v10, v17, -v31
	v_mul_f16_sdwa v17, v10, v17 dst_sel:DWORD dst_unused:UNUSED_PAD src0_sel:WORD_1 src1_sel:DWORD
	v_fma_f16 v34, v10, v7, v17
	ds_read_u16 v10, v6 offset:366
	ds_read_b32 v17, v6 offset:572
	v_lshrrev_b32_e32 v33, 16, v21
	v_mul_f16_sdwa v7, v33, v12 dst_sel:DWORD dst_unused:UNUSED_PAD src0_sel:DWORD src1_sel:WORD_1
	v_fma_f16 v35, v21, v12, -v7
	v_mul_f16_sdwa v7, v21, v12 dst_sel:DWORD dst_unused:UNUSED_PAD src0_sel:DWORD src1_sel:WORD_1
	s_waitcnt lgkmcnt(2)
	v_mul_f16_sdwa v21, v11, v8 dst_sel:DWORD dst_unused:UNUSED_PAD src0_sel:WORD_1 src1_sel:DWORD
	v_fma_f16 v12, v33, v12, v7
	s_waitcnt lgkmcnt(1)
	v_fma_f16 v33, v10, v11, v21
	v_mul_f16_sdwa v10, v10, v11 dst_sel:DWORD dst_unused:UNUSED_PAD src0_sel:DWORD src1_sel:WORD_1
	v_fma_f16 v11, v11, v8, -v10
	v_lshrrev_b32_e32 v8, 16, v18
	s_waitcnt vmcnt(0)
	v_mul_f16_sdwa v10, v8, v13 dst_sel:DWORD dst_unused:UNUSED_PAD src0_sel:DWORD src1_sel:WORD_1
	v_fma_f16 v36, v18, v13, -v10
	v_mul_f16_sdwa v10, v18, v13 dst_sel:DWORD dst_unused:UNUSED_PAD src0_sel:DWORD src1_sel:WORD_1
	v_fma_f16 v18, v8, v13, v10
	v_lshrrev_b32_e32 v8, 16, v9
	v_add_u32_e32 v7, v28, v26
	v_mul_f16_sdwa v10, v8, v14 dst_sel:DWORD dst_unused:UNUSED_PAD src0_sel:DWORD src1_sel:WORD_1
	ds_read_b32 v26, v7
	v_fma_f16 v13, v9, v14, -v10
	v_mul_f16_sdwa v9, v9, v14 dst_sel:DWORD dst_unused:UNUSED_PAD src0_sel:DWORD src1_sel:WORD_1
	v_fma_f16 v37, v8, v14, v9
	s_waitcnt lgkmcnt(1)
	v_lshrrev_b32_e32 v8, 16, v17
	v_mul_f16_sdwa v9, v8, v15 dst_sel:DWORD dst_unused:UNUSED_PAD src0_sel:DWORD src1_sel:WORD_1
	v_fma_f16 v38, v17, v15, -v9
	v_mul_f16_sdwa v9, v17, v15 dst_sel:DWORD dst_unused:UNUSED_PAD src0_sel:DWORD src1_sel:WORD_1
	v_sub_f16_e32 v14, v16, v32
	v_fma_f16 v39, v8, v15, v9
	v_fma_f16 v9, v16, 2.0, -v14
	v_mul_lo_u16_e32 v16, 12, v22
	s_waitcnt lgkmcnt(0)
	v_sub_f16_e32 v8, v26, v19
	v_or_b32_e32 v19, v16, v23
	v_lshrrev_b32_e32 v16, 16, v26
	v_sub_f16_e32 v10, v0, v20
	v_sub_f16_e32 v17, v16, v27
	v_fma_f16 v0, v0, 2.0, -v10
	v_fma_f16 v16, v16, 2.0, -v17
	v_sub_f16_e32 v21, v16, v0
	v_add_f16_e32 v23, v17, v14
	v_fma_f16 v15, v26, 2.0, -v8
	v_fma_f16 v20, v16, 2.0, -v21
	;; [unrolled: 1-line block ×3, first 2 shown]
	ds_read2_b32 v[16:17], v6 offset0:13 offset1:26
	v_sub_f16_e32 v9, v15, v9
	v_sub_f16_e32 v10, v8, v10
	v_fma_f16 v8, v8, 2.0, -v10
	v_fma_f16 v0, v15, 2.0, -v9
	v_and_b32_e32 v14, 0xff, v19
	v_lshl_add_u32 v14, v14, 2, v28
	v_pack_b32_f16 v15, v0, v20
	v_pack_b32_f16 v19, v8, v22
	s_waitcnt lgkmcnt(0)
	s_barrier
	ds_write2_b32 v14, v15, v19 offset1:3
	v_pack_b32_f16 v15, v9, v21
	v_pack_b32_f16 v19, v10, v23
	ds_write2_b32 v14, v15, v19 offset0:6 offset1:9
	v_sub_f16_e32 v14, v16, v11
	v_sub_f16_e32 v19, v31, v35
	v_fma_f16 v11, v31, 2.0, -v19
	v_fma_f16 v26, v16, 2.0, -v14
	v_lshrrev_b32_e32 v16, 16, v16
	v_sub_f16_e32 v15, v26, v11
	v_sub_f16_e32 v12, v34, v12
	v_or_b32_e32 v31, v24, v25
	v_sub_f16_e32 v25, v16, v33
	v_fma_f16 v11, v26, 2.0, -v15
	v_fma_f16 v26, v34, 2.0, -v12
	;; [unrolled: 1-line block ×3, first 2 shown]
	v_sub_f16_e32 v12, v14, v12
	v_sub_f16_e32 v24, v16, v26
	v_add_f16_e32 v27, v25, v19
	v_fma_f16 v14, v14, 2.0, -v12
	v_fma_f16 v26, v16, 2.0, -v24
	;; [unrolled: 1-line block ×3, first 2 shown]
	v_and_b32_e32 v16, 0xff, v31
	v_lshl_add_u32 v16, v16, 2, v28
	v_pack_b32_f16 v19, v11, v26
	v_pack_b32_f16 v31, v14, v25
	ds_write2_b32 v16, v19, v31 offset1:3
	v_pack_b32_f16 v19, v15, v24
	v_pack_b32_f16 v31, v12, v27
	ds_write2_b32 v16, v19, v31 offset0:6 offset1:9
	v_lshrrev_b32_e32 v19, 16, v17
	v_sub_f16_e32 v16, v17, v13
	v_sub_f16_e32 v31, v36, v38
	;; [unrolled: 1-line block ×4, first 2 shown]
	v_fma_f16 v13, v17, 2.0, -v16
	v_fma_f16 v17, v36, 2.0, -v31
	;; [unrolled: 1-line block ×4, first 2 shown]
	v_sub_f16_e32 v17, v13, v17
	v_sub_f16_e32 v18, v16, v32
	v_lshl_add_u32 v32, v29, 2, v28
	v_sub_f16_e32 v29, v19, v33
	v_add_f16_e32 v31, v30, v31
	v_fma_f16 v13, v13, 2.0, -v17
	v_fma_f16 v16, v16, 2.0, -v18
	;; [unrolled: 1-line block ×4, first 2 shown]
	v_pack_b32_f16 v19, v13, v28
	v_pack_b32_f16 v33, v16, v30
	ds_write2_b32 v32, v19, v33 offset1:3
	v_pack_b32_f16 v19, v17, v29
	v_pack_b32_f16 v33, v18, v31
	ds_write2_b32 v32, v19, v33 offset0:6 offset1:9
	s_waitcnt lgkmcnt(0)
	s_barrier
	s_waitcnt lgkmcnt(0)
                                        ; implicit-def: $vgpr32
	s_and_saveexec_b64 s[2:3], s[0:1]
	s_cbranch_execz .LBB0_14
; %bb.13:
	ds_read_b32 v0, v7
	ds_read2_b32 v[8:9], v6 offset0:12 offset1:24
	ds_read2_b32 v[10:11], v6 offset0:36 offset1:48
	;; [unrolled: 1-line block ×6, first 2 shown]
	s_waitcnt lgkmcnt(6)
	v_lshrrev_b32_e32 v20, 16, v0
	s_waitcnt lgkmcnt(5)
	v_lshrrev_b32_e32 v22, 16, v8
	;; [unrolled: 2-line block ×4, first 2 shown]
	v_lshrrev_b32_e32 v29, 16, v17
	s_waitcnt lgkmcnt(1)
	v_lshrrev_b32_e32 v31, 16, v18
	v_lshrrev_b32_e32 v32, 16, v19
	;; [unrolled: 1-line block ×5, first 2 shown]
	s_waitcnt lgkmcnt(0)
	v_lshrrev_b32_e32 v25, 16, v14
	v_lshrrev_b32_e32 v24, 16, v15
	;; [unrolled: 1-line block ×3, first 2 shown]
.LBB0_14:
	s_or_b64 exec, exec, s[2:3]
	v_cmp_gt_u32_e64 s[2:3], 12, v3
	s_and_b64 s[2:3], vcc, s[2:3]
	s_and_saveexec_b64 s[6:7], s[2:3]
	s_cbranch_execz .LBB0_16
; %bb.15:
	v_add_u32_e32 v6, -12, v3
	v_cndmask_b32_e64 v6, v6, v3, s[0:1]
	v_mul_i32_i24_e32 v6, 12, v6
	v_mov_b32_e32 v7, 0
	v_lshlrev_b64 v[33:34], 2, v[6:7]
	v_mov_b32_e32 v6, s13
	v_add_co_u32_e32 v45, vcc, s12, v33
	v_addc_co_u32_e32 v46, vcc, v6, v34, vcc
	global_load_dwordx4 v[33:36], v[45:46], off offset:36
	global_load_dwordx4 v[37:40], v[45:46], off offset:68
	;; [unrolled: 1-line block ×3, first 2 shown]
	v_mul_lo_u32 v45, s5, v4
	v_mul_lo_u32 v46, s4, v5
	v_mad_u64_u32 v[5:6], s[0:1], s4, v4, 0
	s_movk_i32 s6, 0x3a95
	s_movk_i32 s3, 0x3b7b
	v_add3_u32 v6, v6, v46, v45
	s_movk_i32 s8, 0x33a8
	s_mov_b32 s9, 0xb94e
	s_mov_b32 s12, 0xbbf1
	;; [unrolled: 1-line block ×3, first 2 shown]
	s_movk_i32 s1, 0x388b
	s_mov_b32 s0, 0xb5ac
	s_mov_b32 s2, 0xbbc4
	;; [unrolled: 1-line block ×3, first 2 shown]
	s_movk_i32 s5, 0x2fb7
	s_movk_i32 s7, 0x3b15
	;; [unrolled: 1-line block ×3, first 2 shown]
	s_mov_b32 s14, 0xbb7b
	s_movk_i32 s15, 0x394e
	s_mov_b32 s16, 0xb3a8
	s_mov_b32 s18, 0xba95
	v_lshlrev_b64 v[5:6], 2, v[5:6]
	v_add_co_u32_e32 v5, vcc, s10, v5
	s_waitcnt vmcnt(2)
	v_lshrrev_b32_e32 v4, 16, v33
	v_mul_f16_e32 v45, v22, v33
	v_lshrrev_b32_e32 v46, 16, v34
	s_waitcnt vmcnt(1)
	v_lshrrev_b32_e32 v52, 16, v40
	v_mul_f16_e32 v53, v32, v40
	v_mul_f16_e32 v47, v21, v34
	v_lshrrev_b32_e32 v54, 16, v39
	v_mul_f16_e32 v55, v31, v39
	s_waitcnt vmcnt(0)
	v_lshrrev_b32_e32 v60, 16, v41
	v_lshrrev_b32_e32 v64, 16, v42
	v_mul_f16_e32 v22, v22, v4
	v_mul_f16_e32 v21, v21, v46
	;; [unrolled: 1-line block ×3, first 2 shown]
	v_fma_f16 v52, v19, v52, v53
	v_fma_f16 v4, v8, v4, v45
	v_lshrrev_b32_e32 v48, 16, v35
	v_mul_f16_e32 v49, v23, v35
	v_lshrrev_b32_e32 v50, 16, v36
	v_lshrrev_b32_e32 v56, 16, v38
	v_mul_f16_e32 v57, v29, v38
	v_lshrrev_b32_e32 v58, 16, v37
	v_mul_f16_e32 v61, v25, v41
	v_mul_f16_e32 v65, v24, v42
	v_lshrrev_b32_e32 v66, 16, v43
	v_mul_f16_e32 v31, v31, v54
	v_mul_f16_e32 v25, v25, v60
	;; [unrolled: 1-line block ×3, first 2 shown]
	v_fma_f16 v53, v18, v54, v55
	v_fma_f16 v45, v9, v46, v47
	v_fma_f16 v8, v8, v33, -v22
	v_fma_f16 v9, v9, v34, -v21
	;; [unrolled: 1-line block ×3, first 2 shown]
	v_add_f16_e32 v21, v52, v4
	v_mul_f16_e32 v51, v26, v36
	v_mul_f16_e32 v59, v30, v37
	v_lshrrev_b32_e32 v62, 16, v44
	v_mul_f16_e32 v67, v27, v43
	v_mul_f16_e32 v23, v23, v48
	;; [unrolled: 1-line block ×6, first 2 shown]
	v_fma_f16 v46, v17, v56, v57
	v_fma_f16 v48, v10, v48, v49
	;; [unrolled: 1-line block ×4, first 2 shown]
	v_fma_f16 v18, v18, v39, -v31
	v_fma_f16 v14, v14, v41, -v25
	;; [unrolled: 1-line block ×3, first 2 shown]
	v_add_f16_e32 v22, v53, v45
	v_mul_f16_e32 v24, 0x388b, v21
	v_sub_f16_e32 v25, v8, v19
	v_mul_f16_e32 v63, v28, v44
	v_mul_f16_e32 v28, v28, v62
	v_fma_f16 v47, v16, v58, v59
	v_fma_f16 v49, v11, v50, v51
	;; [unrolled: 1-line block ×3, first 2 shown]
	v_fma_f16 v10, v10, v35, -v23
	v_fma_f16 v11, v11, v36, -v26
	;; [unrolled: 1-line block ×5, first 2 shown]
	v_add_f16_e32 v23, v46, v48
	v_mul_f16_e32 v26, 0xb5ac, v22
	v_sub_f16_e32 v27, v9, v18
	v_fma_f16 v30, v25, s6, v24
	v_fma_f16 v50, v13, v62, v63
	v_fma_f16 v13, v13, v44, -v28
	v_mul_f16_e32 v28, 0xbbc4, v23
	v_sub_f16_e32 v29, v10, v17
	v_fma_f16 v31, v27, s3, v26
	v_add_f16_e32 v30, v20, v30
	v_add_f16_e32 v30, v30, v31
	v_fma_f16 v31, v29, s8, v28
	v_add_f16_e32 v30, v30, v31
	v_add_f16_e32 v31, v47, v49
	v_mul_f16_e32 v32, 0xb9fd, v31
	v_sub_f16_e32 v33, v11, v16
	v_fma_f16 v34, v33, s9, v32
	v_add_f16_e32 v30, v30, v34
	v_add_f16_e32 v34, v50, v54
	v_mul_f16_e32 v35, 0x2fb7, v34
	v_sub_f16_e32 v36, v14, v13
	;; [unrolled: 5-line block ×3, first 2 shown]
	v_fma_f16 v40, v39, s17, v38
	v_sub_f16_e32 v41, v4, v52
	v_add_f16_e32 v30, v30, v40
	v_add_f16_e32 v40, v19, v8
	v_mul_f16_e32 v42, 0xba95, v41
	v_sub_f16_e32 v56, v45, v53
	v_fma_f16 v43, v40, s1, v42
	v_add_f16_e32 v44, v18, v9
	v_mul_f16_e32 v57, 0xbb7b, v56
	v_add_f16_e32 v43, v0, v43
	v_fma_f16 v58, v44, s0, v57
	v_sub_f16_e32 v59, v48, v46
	v_add_f16_e32 v43, v43, v58
	v_add_f16_e32 v58, v17, v10
	v_mul_f16_e32 v60, 0xb3a8, v59
	v_fma_f16 v61, v58, s2, v60
	v_sub_f16_e32 v62, v49, v47
	v_add_f16_e32 v43, v43, v61
	v_add_f16_e32 v61, v16, v11
	v_mul_f16_e32 v63, 0x394e, v62
	;; [unrolled: 5-line block ×4, first 2 shown]
	v_fma_f16 v70, v67, s7, v69
	v_add_f16_e32 v43, v43, v70
	v_mul_f16_e32 v70, 0x2fb7, v21
	v_fma_f16 v71, v25, s13, v70
	v_mul_f16_e32 v72, 0xbbc4, v22
	v_add_f16_e32 v71, v20, v71
	v_fma_f16 v73, v27, s8, v72
	v_add_f16_e32 v71, v71, v73
	v_mul_f16_e32 v73, 0xb5ac, v23
	v_fma_f16 v74, v29, s14, v73
	v_add_f16_e32 v71, v71, v74
	v_mul_f16_e32 v74, 0x3b15, v31
	v_fma_f16 v75, v33, s17, v74
	v_add_f16_e32 v71, v71, v75
	v_mul_f16_e32 v75, 0x388b, v34
	v_fma_f16 v76, v36, s6, v75
	v_add_f16_e32 v71, v71, v76
	v_mul_f16_e32 v76, 0xb9fd, v37
	v_fma_f16 v77, v39, s15, v76
	v_add_f16_e32 v71, v71, v77
	v_mul_f16_e32 v77, 0xbbf1, v41
	v_fma_f16 v78, v40, s5, v77
	v_mul_f16_e32 v79, 0xb3a8, v56
	v_add_f16_e32 v78, v0, v78
	v_fma_f16 v80, v44, s2, v79
	v_add_f16_e32 v78, v78, v80
	v_mul_f16_e32 v80, 0x3b7b, v59
	v_fma_f16 v81, v58, s0, v80
	v_add_f16_e32 v78, v78, v81
	v_mul_f16_e32 v81, 0x3770, v62
	v_fma_f16 v82, v61, s7, v81
	v_add_f16_e32 v78, v78, v82
	v_mul_f16_e32 v82, 0xba95, v65
	v_fma_f16 v83, v64, s1, v82
	v_add_f16_e32 v78, v78, v83
	v_mul_f16_e32 v83, 0xb94e, v68
	;; [unrolled: 18-line block ×5, first 2 shown]
	v_fma_f16 v105, v39, s3, v104
	v_add_f16_e32 v99, v99, v105
	v_mul_f16_e32 v105, 0xb94e, v41
	v_fma_f16 v106, v40, s4, v105
	v_mul_f16_e32 v107, 0x3bf1, v56
	v_add_f16_e32 v106, v0, v106
	v_fma_f16 v108, v44, s5, v107
	v_fma_f16 v24, v25, s18, v24
	v_add_f16_e32 v106, v106, v108
	v_mul_f16_e32 v108, 0xba95, v59
	v_add_f16_e32 v24, v20, v24
	v_fma_f16 v26, v27, s14, v26
	v_fma_f16 v109, v58, s1, v108
	v_add_f16_e32 v24, v24, v26
	v_fma_f16 v26, v29, s16, v28
	v_add_f16_e32 v106, v106, v109
	v_mul_f16_e32 v109, 0x33a8, v62
	v_mul_f16_e32 v114, 0x3b15, v22
	v_add_f16_e32 v24, v24, v26
	v_fma_f16 v26, v33, s15, v32
	v_fma_f16 v110, v61, s2, v109
	;; [unrolled: 1-line block ×3, first 2 shown]
	s_movk_i32 s17, 0x3770
	v_add_f16_e32 v24, v24, v26
	v_fma_f16 v26, v36, s13, v35
	v_add_f16_e32 v106, v106, v110
	v_mul_f16_e32 v110, 0x3770, v65
	v_add_f16_e32 v24, v24, v26
	v_fma_f16 v26, v39, s17, v38
	v_fma_f16 v111, v64, s7, v110
	v_add_f16_e32 v24, v24, v26
	v_fma_f16 v26, v40, s1, -v42
	v_add_f16_e32 v106, v106, v111
	v_mul_f16_e32 v111, 0xbb7b, v68
	v_add_f16_e32 v26, v0, v26
	v_fma_f16 v28, v44, s0, -v57
	v_fma_f16 v112, v67, s0, v111
	v_add_f16_e32 v26, v26, v28
	v_fma_f16 v28, v58, s2, -v60
	v_add_f16_e32 v106, v106, v112
	v_mul_f16_e32 v112, 0xbbc4, v21
	v_add_f16_e32 v26, v26, v28
	v_fma_f16 v28, v61, s4, -v63
	v_add_f16_e32 v4, v20, v4
	v_fma_f16 v113, v25, s8, v112
	v_add_f16_e32 v26, v26, v28
	v_fma_f16 v28, v64, s5, -v66
	v_add_f16_e32 v4, v4, v45
	v_add_f16_e32 v113, v20, v113
	v_fma_f16 v112, v25, s16, v112
	v_fma_f16 v98, v25, s9, v98
	;; [unrolled: 1-line block ×4, first 2 shown]
	v_add_f16_e32 v26, v26, v28
	v_fma_f16 v28, v67, s7, -v69
	v_mul_f16_e32 v25, 0xb770, v25
	v_add_f16_e32 v4, v4, v48
	v_add_f16_e32 v113, v113, v115
	v_mul_f16_e32 v115, 0xb9fd, v23
	v_add_f16_e32 v112, v20, v112
	v_fma_f16 v114, v27, s17, v114
	v_add_f16_e32 v98, v20, v98
	v_fma_f16 v100, v27, s13, v100
	;; [unrolled: 2-line block ×5, first 2 shown]
	v_mul_f16_e32 v27, 0xba95, v27
	v_add_f16_e32 v4, v4, v49
	v_fma_f16 v116, v29, s15, v115
	v_add_f16_e32 v112, v112, v114
	v_fma_f16 v114, v29, s9, v115
	v_add_f16_e32 v98, v98, v100
	v_fma_f16 v100, v29, s18, v101
	v_add_f16_e32 v84, v84, v86
	v_fma_f16 v86, v29, s17, v87
	v_add_f16_e32 v70, v70, v72
	v_fma_f16 v72, v29, s3, v73
	v_add_f16_e32 v28, v20, v28
	v_fma_f16 v32, v22, s1, v27
	v_mul_f16_e32 v29, 0xbbf1, v29
	v_add_f16_e32 v4, v4, v54
	v_add_f16_e32 v28, v28, v32
	v_fma_f16 v32, v23, s5, v29
	v_add_f16_e32 v4, v4, v55
	v_add_f16_e32 v113, v113, v116
	v_mul_f16_e32 v116, 0x388b, v31
	v_add_f16_e32 v28, v28, v32
	v_mul_f16_e32 v32, 0xbb7b, v33
	v_add_f16_e32 v4, v51, v4
	v_fma_f16 v117, v33, s18, v116
	v_add_f16_e32 v112, v112, v114
	v_fma_f16 v114, v33, s6, v116
	v_add_f16_e32 v98, v98, v100
	v_fma_f16 v100, v33, s8, v102
	v_add_f16_e32 v84, v84, v86
	v_fma_f16 v86, v33, s12, v88
	v_add_f16_e32 v70, v70, v72
	v_fma_f16 v72, v33, s17, v74
	v_fma_f16 v33, v31, s0, v32
	v_add_f16_e32 v4, v50, v4
	v_add_f16_e32 v28, v28, v33
	v_mul_f16_e32 v33, 0xb94e, v36
	v_add_f16_e32 v4, v47, v4
	v_fma_f16 v35, v34, s4, v33
	v_add_f16_e32 v4, v46, v4
	v_add_f16_e32 v113, v113, v117
	v_mul_f16_e32 v117, 0xb5ac, v34
	v_add_f16_e32 v28, v28, v35
	v_mul_f16_e32 v35, 0xb3a8, v39
	v_add_f16_e32 v8, v0, v8
	v_add_f16_e32 v4, v53, v4
	v_fma_f16 v118, v36, s3, v117
	v_add_f16_e32 v112, v112, v114
	v_fma_f16 v114, v36, s14, v117
	;; [unrolled: 2-line block ×5, first 2 shown]
	v_fma_f16 v36, v37, s2, v35
	v_add_f16_e32 v8, v8, v9
	v_add_f16_e32 v9, v52, v4
	v_fma_f16 v4, v21, s7, -v25
	v_add_f16_e32 v113, v113, v118
	v_mul_f16_e32 v118, 0x2fb7, v37
	v_add_f16_e32 v28, v28, v36
	v_mul_f16_e32 v36, 0xb770, v41
	v_add_f16_e32 v8, v8, v10
	v_add_f16_e32 v4, v20, v4
	v_fma_f16 v10, v22, s1, -v27
	v_fma_f16 v119, v39, s12, v118
	v_add_f16_e32 v112, v112, v114
	v_fma_f16 v114, v39, s13, v118
	v_add_f16_e32 v98, v98, v100
	v_fma_f16 v100, v39, s14, v104
	v_add_f16_e32 v84, v84, v86
	v_fma_f16 v86, v39, s6, v90
	v_add_f16_e32 v70, v70, v72
	v_fma_f16 v72, v39, s9, v76
	v_fma_f16 v38, v40, s7, -v36
	v_mul_f16_e32 v39, 0xba95, v56
	v_add_f16_e32 v4, v4, v10
	v_fma_f16 v10, v23, s5, -v29
	v_add_f16_e32 v113, v113, v119
	v_mul_f16_e32 v119, 0xb3a8, v41
	v_add_f16_e32 v38, v0, v38
	v_fma_f16 v41, v44, s1, -v39
	v_add_f16_e32 v4, v4, v10
	v_fma_f16 v10, v31, s0, -v32
	v_add_f16_e32 v38, v38, v41
	v_mul_f16_e32 v41, 0xbbf1, v59
	v_add_f16_e32 v4, v4, v10
	v_fma_f16 v10, v34, s4, -v33
	v_fma_f16 v42, v58, s5, -v41
	v_add_f16_e32 v4, v4, v10
	v_fma_f16 v10, v37, s2, -v35
	v_fma_f16 v120, v40, s2, v119
	v_add_f16_e32 v112, v112, v114
	v_fma_f16 v114, v40, s2, -v119
	v_add_f16_e32 v98, v98, v100
	v_fma_f16 v100, v40, s4, -v105
	;; [unrolled: 2-line block ×4, first 2 shown]
	v_add_f16_e32 v38, v38, v42
	v_mul_f16_e32 v42, 0xbb7b, v62
	v_add_f16_e32 v10, v4, v10
	v_fma_f16 v4, v40, s7, v36
	v_add_f16_e32 v120, v0, v120
	v_mul_f16_e32 v121, 0x3770, v56
	v_add_f16_e32 v114, v0, v114
	v_add_f16_e32 v100, v0, v100
	;; [unrolled: 1-line block ×4, first 2 shown]
	v_fma_f16 v56, v61, s0, -v42
	v_add_f16_e32 v0, v0, v4
	v_fma_f16 v4, v44, s1, v39
	v_add_f16_e32 v38, v38, v56
	v_mul_f16_e32 v56, 0xb94e, v65
	v_add_f16_e32 v0, v0, v4
	v_fma_f16 v4, v58, s5, v41
	v_fma_f16 v57, v64, s4, -v56
	v_add_f16_e32 v0, v0, v4
	v_fma_f16 v4, v61, s0, v42
	v_add_f16_e32 v38, v38, v57
	v_mul_f16_e32 v57, 0xb3a8, v68
	v_add_f16_e32 v8, v8, v11
	v_add_f16_e32 v0, v0, v4
	v_fma_f16 v4, v64, s4, v56
	v_add_f16_e32 v8, v8, v14
	v_add_f16_e32 v0, v0, v4
	v_fma_f16 v4, v67, s2, v57
	v_add_f16_e32 v8, v8, v15
	v_add_f16_e32 v11, v0, v4
	v_mov_b32_e32 v0, s11
	v_add_f16_e32 v8, v12, v8
	v_addc_co_u32_e32 v6, vcc, v0, v6, vcc
	v_lshlrev_b64 v[0:1], 2, v[1:2]
	v_add_f16_e32 v8, v13, v8
	v_fma_f16 v122, v44, s7, v121
	v_add_f16_e32 v8, v16, v8
	v_mov_b32_e32 v4, v7
	v_add_co_u32_e32 v2, vcc, v5, v0
	v_add_f16_e32 v120, v120, v122
	v_mul_f16_e32 v122, 0xb94e, v59
	v_fma_f16 v73, v44, s2, -v79
	v_add_f16_e32 v8, v17, v8
	v_addc_co_u32_e32 v5, vcc, v6, v1, vcc
	v_lshlrev_b64 v[0:1], 2, v[3:4]
	v_fma_f16 v123, v58, s4, v122
	v_fma_f16 v87, v44, s4, -v93
	v_add_f16_e32 v72, v72, v73
	v_fma_f16 v73, v58, s0, -v80
	v_add_f16_e32 v8, v18, v8
	v_add_f16_e32 v120, v120, v123
	v_mul_f16_e32 v123, 0x3a95, v62
	v_fma_f16 v101, v44, s5, -v107
	v_add_f16_e32 v86, v86, v87
	v_fma_f16 v87, v58, s7, -v94
	v_add_f16_e32 v72, v72, v73
	v_fma_f16 v73, v61, s7, -v81
	v_fma_f16 v59, v67, s2, -v57
	v_add_f16_e32 v8, v19, v8
	v_add_co_u32_e32 v0, vcc, v2, v0
	v_fma_f16 v124, v61, s1, v123
	v_fma_f16 v115, v44, s7, -v121
	v_add_f16_e32 v100, v100, v101
	v_fma_f16 v101, v58, s1, -v108
	v_add_f16_e32 v86, v86, v87
	;; [unrolled: 2-line block ×4, first 2 shown]
	v_addc_co_u32_e32 v1, vcc, v5, v1, vcc
	v_pack_b32_f16 v2, v8, v9
	v_add_f16_e32 v120, v120, v124
	v_mul_f16_e32 v124, 0xbb7b, v65
	v_add_f16_e32 v114, v114, v115
	v_fma_f16 v115, v58, s4, -v122
	v_add_f16_e32 v100, v100, v101
	v_fma_f16 v101, v61, s2, -v109
	;; [unrolled: 2-line block ×4, first 2 shown]
	global_store_dword v[0:1], v2, off
	v_pack_b32_f16 v2, v38, v28
	v_fma_f16 v125, v64, s0, v124
	v_add_f16_e32 v114, v114, v115
	v_fma_f16 v115, v61, s1, -v123
	v_add_f16_e32 v100, v100, v101
	v_fma_f16 v101, v64, s7, -v110
	;; [unrolled: 2-line block ×3, first 2 shown]
	v_add_f16_e32 v72, v72, v73
	global_store_dword v[0:1], v2, off offset:48
	v_pack_b32_f16 v2, v26, v24
	v_add_f16_e32 v120, v120, v125
	v_mul_f16_e32 v125, 0x3bf1, v68
	v_add_f16_e32 v114, v114, v115
	v_fma_f16 v115, v64, s0, -v124
	v_add_f16_e32 v100, v100, v101
	v_fma_f16 v101, v67, s0, -v111
	v_add_f16_e32 v86, v86, v87
	global_store_dword v[0:1], v2, off offset:96
	v_pack_b32_f16 v2, v72, v70
	v_add_f16_e32 v114, v114, v115
	v_fma_f16 v115, v67, s5, -v125
	v_add_f16_e32 v100, v100, v101
	global_store_dword v[0:1], v2, off offset:144
	v_pack_b32_f16 v2, v86, v84
	v_fma_f16 v126, v67, s5, v125
	v_add_f16_e32 v114, v114, v115
	global_store_dword v[0:1], v2, off offset:192
	v_pack_b32_f16 v2, v100, v98
	v_add_f16_e32 v120, v120, v126
	global_store_dword v[0:1], v2, off offset:240
	v_pack_b32_f16 v2, v114, v112
	global_store_dword v[0:1], v2, off offset:288
	v_pack_b32_f16 v2, v120, v113
	;; [unrolled: 2-line block ×7, first 2 shown]
	global_store_dword v[0:1], v2, off offset:576
.LBB0_16:
	s_endpgm
	.section	.rodata,"a",@progbits
	.p2align	6, 0x0
	.amdhsa_kernel fft_rtc_fwd_len156_factors_3_4_13_wgs_117_tpt_13_half_op_CI_CI_unitstride_sbrr_dirReg
		.amdhsa_group_segment_fixed_size 0
		.amdhsa_private_segment_fixed_size 0
		.amdhsa_kernarg_size 104
		.amdhsa_user_sgpr_count 6
		.amdhsa_user_sgpr_private_segment_buffer 1
		.amdhsa_user_sgpr_dispatch_ptr 0
		.amdhsa_user_sgpr_queue_ptr 0
		.amdhsa_user_sgpr_kernarg_segment_ptr 1
		.amdhsa_user_sgpr_dispatch_id 0
		.amdhsa_user_sgpr_flat_scratch_init 0
		.amdhsa_user_sgpr_private_segment_size 0
		.amdhsa_uses_dynamic_stack 0
		.amdhsa_system_sgpr_private_segment_wavefront_offset 0
		.amdhsa_system_sgpr_workgroup_id_x 1
		.amdhsa_system_sgpr_workgroup_id_y 0
		.amdhsa_system_sgpr_workgroup_id_z 0
		.amdhsa_system_sgpr_workgroup_info 0
		.amdhsa_system_vgpr_workitem_id 0
		.amdhsa_next_free_vgpr 127
		.amdhsa_next_free_sgpr 28
		.amdhsa_reserve_vcc 1
		.amdhsa_reserve_flat_scratch 0
		.amdhsa_float_round_mode_32 0
		.amdhsa_float_round_mode_16_64 0
		.amdhsa_float_denorm_mode_32 3
		.amdhsa_float_denorm_mode_16_64 3
		.amdhsa_dx10_clamp 1
		.amdhsa_ieee_mode 1
		.amdhsa_fp16_overflow 0
		.amdhsa_exception_fp_ieee_invalid_op 0
		.amdhsa_exception_fp_denorm_src 0
		.amdhsa_exception_fp_ieee_div_zero 0
		.amdhsa_exception_fp_ieee_overflow 0
		.amdhsa_exception_fp_ieee_underflow 0
		.amdhsa_exception_fp_ieee_inexact 0
		.amdhsa_exception_int_div_zero 0
	.end_amdhsa_kernel
	.text
.Lfunc_end0:
	.size	fft_rtc_fwd_len156_factors_3_4_13_wgs_117_tpt_13_half_op_CI_CI_unitstride_sbrr_dirReg, .Lfunc_end0-fft_rtc_fwd_len156_factors_3_4_13_wgs_117_tpt_13_half_op_CI_CI_unitstride_sbrr_dirReg
                                        ; -- End function
	.section	.AMDGPU.csdata,"",@progbits
; Kernel info:
; codeLenInByte = 6496
; NumSgprs: 32
; NumVgprs: 127
; ScratchSize: 0
; MemoryBound: 0
; FloatMode: 240
; IeeeMode: 1
; LDSByteSize: 0 bytes/workgroup (compile time only)
; SGPRBlocks: 3
; VGPRBlocks: 31
; NumSGPRsForWavesPerEU: 32
; NumVGPRsForWavesPerEU: 127
; Occupancy: 2
; WaveLimiterHint : 1
; COMPUTE_PGM_RSRC2:SCRATCH_EN: 0
; COMPUTE_PGM_RSRC2:USER_SGPR: 6
; COMPUTE_PGM_RSRC2:TRAP_HANDLER: 0
; COMPUTE_PGM_RSRC2:TGID_X_EN: 1
; COMPUTE_PGM_RSRC2:TGID_Y_EN: 0
; COMPUTE_PGM_RSRC2:TGID_Z_EN: 0
; COMPUTE_PGM_RSRC2:TIDIG_COMP_CNT: 0
	.type	__hip_cuid_dd6448d3ebc9845e,@object ; @__hip_cuid_dd6448d3ebc9845e
	.section	.bss,"aw",@nobits
	.globl	__hip_cuid_dd6448d3ebc9845e
__hip_cuid_dd6448d3ebc9845e:
	.byte	0                               ; 0x0
	.size	__hip_cuid_dd6448d3ebc9845e, 1

	.ident	"AMD clang version 19.0.0git (https://github.com/RadeonOpenCompute/llvm-project roc-6.4.0 25133 c7fe45cf4b819c5991fe208aaa96edf142730f1d)"
	.section	".note.GNU-stack","",@progbits
	.addrsig
	.addrsig_sym __hip_cuid_dd6448d3ebc9845e
	.amdgpu_metadata
---
amdhsa.kernels:
  - .args:
      - .actual_access:  read_only
        .address_space:  global
        .offset:         0
        .size:           8
        .value_kind:     global_buffer
      - .offset:         8
        .size:           8
        .value_kind:     by_value
      - .actual_access:  read_only
        .address_space:  global
        .offset:         16
        .size:           8
        .value_kind:     global_buffer
      - .actual_access:  read_only
        .address_space:  global
        .offset:         24
        .size:           8
        .value_kind:     global_buffer
      - .actual_access:  read_only
        .address_space:  global
        .offset:         32
        .size:           8
        .value_kind:     global_buffer
      - .offset:         40
        .size:           8
        .value_kind:     by_value
      - .actual_access:  read_only
        .address_space:  global
        .offset:         48
        .size:           8
        .value_kind:     global_buffer
      - .actual_access:  read_only
        .address_space:  global
        .offset:         56
        .size:           8
        .value_kind:     global_buffer
      - .offset:         64
        .size:           4
        .value_kind:     by_value
      - .actual_access:  read_only
        .address_space:  global
        .offset:         72
        .size:           8
        .value_kind:     global_buffer
      - .actual_access:  read_only
        .address_space:  global
        .offset:         80
        .size:           8
        .value_kind:     global_buffer
      - .actual_access:  read_only
        .address_space:  global
        .offset:         88
        .size:           8
        .value_kind:     global_buffer
      - .actual_access:  write_only
        .address_space:  global
        .offset:         96
        .size:           8
        .value_kind:     global_buffer
    .group_segment_fixed_size: 0
    .kernarg_segment_align: 8
    .kernarg_segment_size: 104
    .language:       OpenCL C
    .language_version:
      - 2
      - 0
    .max_flat_workgroup_size: 117
    .name:           fft_rtc_fwd_len156_factors_3_4_13_wgs_117_tpt_13_half_op_CI_CI_unitstride_sbrr_dirReg
    .private_segment_fixed_size: 0
    .sgpr_count:     32
    .sgpr_spill_count: 0
    .symbol:         fft_rtc_fwd_len156_factors_3_4_13_wgs_117_tpt_13_half_op_CI_CI_unitstride_sbrr_dirReg.kd
    .uniform_work_group_size: 1
    .uses_dynamic_stack: false
    .vgpr_count:     127
    .vgpr_spill_count: 0
    .wavefront_size: 64
amdhsa.target:   amdgcn-amd-amdhsa--gfx906
amdhsa.version:
  - 1
  - 2
...

	.end_amdgpu_metadata
